;; amdgpu-corpus repo=ROCm/rocFFT kind=compiled arch=gfx1201 opt=O3
	.text
	.amdgcn_target "amdgcn-amd-amdhsa--gfx1201"
	.amdhsa_code_object_version 6
	.protected	fft_rtc_fwd_len1760_factors_2_2_2_2_2_11_5_wgs_176_tpt_176_halfLds_half_op_CI_CI_unitstride_sbrr_C2R_dirReg ; -- Begin function fft_rtc_fwd_len1760_factors_2_2_2_2_2_11_5_wgs_176_tpt_176_halfLds_half_op_CI_CI_unitstride_sbrr_C2R_dirReg
	.globl	fft_rtc_fwd_len1760_factors_2_2_2_2_2_11_5_wgs_176_tpt_176_halfLds_half_op_CI_CI_unitstride_sbrr_C2R_dirReg
	.p2align	8
	.type	fft_rtc_fwd_len1760_factors_2_2_2_2_2_11_5_wgs_176_tpt_176_halfLds_half_op_CI_CI_unitstride_sbrr_C2R_dirReg,@function
fft_rtc_fwd_len1760_factors_2_2_2_2_2_11_5_wgs_176_tpt_176_halfLds_half_op_CI_CI_unitstride_sbrr_C2R_dirReg: ; @fft_rtc_fwd_len1760_factors_2_2_2_2_2_11_5_wgs_176_tpt_176_halfLds_half_op_CI_CI_unitstride_sbrr_C2R_dirReg
; %bb.0:
	s_clause 0x2
	s_load_b128 s[8:11], s[0:1], 0x0
	s_load_b128 s[4:7], s[0:1], 0x58
	;; [unrolled: 1-line block ×3, first 2 shown]
	v_mul_u32_u24_e32 v1, 0x175, v0
	v_mov_b32_e32 v3, 0
	s_delay_alu instid0(VALU_DEP_2) | instskip(NEXT) | instid1(VALU_DEP_1)
	v_lshrrev_b32_e32 v1, 16, v1
	v_add_nc_u32_e32 v5, ttmp9, v1
	v_mov_b32_e32 v1, 0
	v_mov_b32_e32 v2, 0
	;; [unrolled: 1-line block ×3, first 2 shown]
	s_wait_kmcnt 0x0
	v_cmp_lt_u64_e64 s2, s[10:11], 2
	s_delay_alu instid0(VALU_DEP_1)
	s_and_b32 vcc_lo, exec_lo, s2
	s_cbranch_vccnz .LBB0_8
; %bb.1:
	s_load_b64 s[2:3], s[0:1], 0x10
	v_mov_b32_e32 v1, 0
	v_mov_b32_e32 v2, 0
	s_add_nc_u64 s[16:17], s[14:15], 8
	s_add_nc_u64 s[18:19], s[12:13], 8
	s_mov_b64 s[20:21], 1
	s_delay_alu instid0(VALU_DEP_1)
	v_dual_mov_b32 v9, v2 :: v_dual_mov_b32 v8, v1
	s_wait_kmcnt 0x0
	s_add_nc_u64 s[22:23], s[2:3], 8
	s_mov_b32 s3, 0
.LBB0_2:                                ; =>This Inner Loop Header: Depth=1
	s_load_b64 s[24:25], s[22:23], 0x0
                                        ; implicit-def: $vgpr12_vgpr13
	s_mov_b32 s2, exec_lo
	s_wait_kmcnt 0x0
	v_or_b32_e32 v4, s25, v6
	s_delay_alu instid0(VALU_DEP_1)
	v_cmpx_ne_u64_e32 0, v[3:4]
	s_wait_alu 0xfffe
	s_xor_b32 s26, exec_lo, s2
	s_cbranch_execz .LBB0_4
; %bb.3:                                ;   in Loop: Header=BB0_2 Depth=1
	s_cvt_f32_u32 s2, s24
	s_cvt_f32_u32 s27, s25
	s_sub_nc_u64 s[30:31], 0, s[24:25]
	s_wait_alu 0xfffe
	s_delay_alu instid0(SALU_CYCLE_1) | instskip(SKIP_1) | instid1(SALU_CYCLE_2)
	s_fmamk_f32 s2, s27, 0x4f800000, s2
	s_wait_alu 0xfffe
	v_s_rcp_f32 s2, s2
	s_delay_alu instid0(TRANS32_DEP_1) | instskip(SKIP_1) | instid1(SALU_CYCLE_2)
	s_mul_f32 s2, s2, 0x5f7ffffc
	s_wait_alu 0xfffe
	s_mul_f32 s27, s2, 0x2f800000
	s_wait_alu 0xfffe
	s_delay_alu instid0(SALU_CYCLE_2) | instskip(SKIP_1) | instid1(SALU_CYCLE_2)
	s_trunc_f32 s27, s27
	s_wait_alu 0xfffe
	s_fmamk_f32 s2, s27, 0xcf800000, s2
	s_cvt_u32_f32 s29, s27
	s_wait_alu 0xfffe
	s_delay_alu instid0(SALU_CYCLE_1) | instskip(SKIP_1) | instid1(SALU_CYCLE_2)
	s_cvt_u32_f32 s28, s2
	s_wait_alu 0xfffe
	s_mul_u64 s[34:35], s[30:31], s[28:29]
	s_wait_alu 0xfffe
	s_mul_hi_u32 s37, s28, s35
	s_mul_i32 s36, s28, s35
	s_mul_hi_u32 s2, s28, s34
	s_mul_i32 s33, s29, s34
	s_wait_alu 0xfffe
	s_add_nc_u64 s[36:37], s[2:3], s[36:37]
	s_mul_hi_u32 s27, s29, s34
	s_mul_hi_u32 s38, s29, s35
	s_add_co_u32 s2, s36, s33
	s_wait_alu 0xfffe
	s_add_co_ci_u32 s2, s37, s27
	s_mul_i32 s34, s29, s35
	s_add_co_ci_u32 s35, s38, 0
	s_wait_alu 0xfffe
	s_add_nc_u64 s[34:35], s[2:3], s[34:35]
	s_wait_alu 0xfffe
	v_add_co_u32 v4, s2, s28, s34
	s_delay_alu instid0(VALU_DEP_1) | instskip(SKIP_1) | instid1(VALU_DEP_1)
	s_cmp_lg_u32 s2, 0
	s_add_co_ci_u32 s29, s29, s35
	v_readfirstlane_b32 s28, v4
	s_wait_alu 0xfffe
	s_delay_alu instid0(VALU_DEP_1)
	s_mul_u64 s[30:31], s[30:31], s[28:29]
	s_wait_alu 0xfffe
	s_mul_hi_u32 s35, s28, s31
	s_mul_i32 s34, s28, s31
	s_mul_hi_u32 s2, s28, s30
	s_mul_i32 s33, s29, s30
	s_wait_alu 0xfffe
	s_add_nc_u64 s[34:35], s[2:3], s[34:35]
	s_mul_hi_u32 s27, s29, s30
	s_mul_hi_u32 s28, s29, s31
	s_wait_alu 0xfffe
	s_add_co_u32 s2, s34, s33
	s_add_co_ci_u32 s2, s35, s27
	s_mul_i32 s30, s29, s31
	s_add_co_ci_u32 s31, s28, 0
	s_wait_alu 0xfffe
	s_add_nc_u64 s[30:31], s[2:3], s[30:31]
	s_wait_alu 0xfffe
	v_add_co_u32 v4, s2, v4, s30
	s_delay_alu instid0(VALU_DEP_1) | instskip(SKIP_1) | instid1(VALU_DEP_1)
	s_cmp_lg_u32 s2, 0
	s_add_co_ci_u32 s2, s29, s31
	v_mul_hi_u32 v7, v5, v4
	s_wait_alu 0xfffe
	v_mad_co_u64_u32 v[10:11], null, v5, s2, 0
	v_mad_co_u64_u32 v[12:13], null, v6, v4, 0
	;; [unrolled: 1-line block ×3, first 2 shown]
	s_delay_alu instid0(VALU_DEP_3) | instskip(SKIP_1) | instid1(VALU_DEP_4)
	v_add_co_u32 v4, vcc_lo, v7, v10
	s_wait_alu 0xfffd
	v_add_co_ci_u32_e32 v7, vcc_lo, 0, v11, vcc_lo
	s_delay_alu instid0(VALU_DEP_2) | instskip(SKIP_1) | instid1(VALU_DEP_2)
	v_add_co_u32 v4, vcc_lo, v4, v12
	s_wait_alu 0xfffd
	v_add_co_ci_u32_e32 v4, vcc_lo, v7, v13, vcc_lo
	s_wait_alu 0xfffd
	v_add_co_ci_u32_e32 v7, vcc_lo, 0, v15, vcc_lo
	s_delay_alu instid0(VALU_DEP_2) | instskip(SKIP_1) | instid1(VALU_DEP_2)
	v_add_co_u32 v4, vcc_lo, v4, v14
	s_wait_alu 0xfffd
	v_add_co_ci_u32_e32 v7, vcc_lo, 0, v7, vcc_lo
	s_delay_alu instid0(VALU_DEP_2) | instskip(SKIP_1) | instid1(VALU_DEP_3)
	v_mul_lo_u32 v12, s25, v4
	v_mad_co_u64_u32 v[10:11], null, s24, v4, 0
	v_mul_lo_u32 v13, s24, v7
	s_delay_alu instid0(VALU_DEP_2) | instskip(NEXT) | instid1(VALU_DEP_2)
	v_sub_co_u32 v10, vcc_lo, v5, v10
	v_add3_u32 v11, v11, v13, v12
	s_delay_alu instid0(VALU_DEP_1) | instskip(SKIP_1) | instid1(VALU_DEP_1)
	v_sub_nc_u32_e32 v12, v6, v11
	s_wait_alu 0xfffd
	v_subrev_co_ci_u32_e64 v12, s2, s25, v12, vcc_lo
	v_add_co_u32 v13, s2, v4, 2
	s_wait_alu 0xf1ff
	v_add_co_ci_u32_e64 v14, s2, 0, v7, s2
	v_sub_co_u32 v15, s2, v10, s24
	v_sub_co_ci_u32_e32 v11, vcc_lo, v6, v11, vcc_lo
	s_wait_alu 0xf1ff
	v_subrev_co_ci_u32_e64 v12, s2, 0, v12, s2
	s_delay_alu instid0(VALU_DEP_3) | instskip(NEXT) | instid1(VALU_DEP_3)
	v_cmp_le_u32_e32 vcc_lo, s24, v15
	v_cmp_eq_u32_e64 s2, s25, v11
	s_wait_alu 0xfffd
	v_cndmask_b32_e64 v15, 0, -1, vcc_lo
	v_cmp_le_u32_e32 vcc_lo, s25, v12
	s_wait_alu 0xfffd
	v_cndmask_b32_e64 v16, 0, -1, vcc_lo
	v_cmp_le_u32_e32 vcc_lo, s24, v10
	;; [unrolled: 3-line block ×3, first 2 shown]
	s_wait_alu 0xfffd
	v_cndmask_b32_e64 v17, 0, -1, vcc_lo
	v_cmp_eq_u32_e32 vcc_lo, s25, v12
	s_wait_alu 0xf1ff
	s_delay_alu instid0(VALU_DEP_2)
	v_cndmask_b32_e64 v10, v17, v10, s2
	s_wait_alu 0xfffd
	v_cndmask_b32_e32 v12, v16, v15, vcc_lo
	v_add_co_u32 v15, vcc_lo, v4, 1
	s_wait_alu 0xfffd
	v_add_co_ci_u32_e32 v16, vcc_lo, 0, v7, vcc_lo
	s_delay_alu instid0(VALU_DEP_3) | instskip(SKIP_1) | instid1(VALU_DEP_2)
	v_cmp_ne_u32_e32 vcc_lo, 0, v12
	s_wait_alu 0xfffd
	v_dual_cndmask_b32 v11, v16, v14 :: v_dual_cndmask_b32 v12, v15, v13
	v_cmp_ne_u32_e32 vcc_lo, 0, v10
	s_wait_alu 0xfffd
	s_delay_alu instid0(VALU_DEP_2)
	v_dual_cndmask_b32 v13, v7, v11 :: v_dual_cndmask_b32 v12, v4, v12
.LBB0_4:                                ;   in Loop: Header=BB0_2 Depth=1
	s_wait_alu 0xfffe
	s_and_not1_saveexec_b32 s2, s26
	s_cbranch_execz .LBB0_6
; %bb.5:                                ;   in Loop: Header=BB0_2 Depth=1
	v_cvt_f32_u32_e32 v4, s24
	s_sub_co_i32 s26, 0, s24
	v_mov_b32_e32 v13, v3
	s_delay_alu instid0(VALU_DEP_2) | instskip(NEXT) | instid1(TRANS32_DEP_1)
	v_rcp_iflag_f32_e32 v4, v4
	v_mul_f32_e32 v4, 0x4f7ffffe, v4
	s_delay_alu instid0(VALU_DEP_1) | instskip(SKIP_1) | instid1(VALU_DEP_1)
	v_cvt_u32_f32_e32 v4, v4
	s_wait_alu 0xfffe
	v_mul_lo_u32 v7, s26, v4
	s_delay_alu instid0(VALU_DEP_1) | instskip(NEXT) | instid1(VALU_DEP_1)
	v_mul_hi_u32 v7, v4, v7
	v_add_nc_u32_e32 v4, v4, v7
	s_delay_alu instid0(VALU_DEP_1) | instskip(NEXT) | instid1(VALU_DEP_1)
	v_mul_hi_u32 v4, v5, v4
	v_mul_lo_u32 v7, v4, s24
	v_add_nc_u32_e32 v10, 1, v4
	s_delay_alu instid0(VALU_DEP_2) | instskip(NEXT) | instid1(VALU_DEP_1)
	v_sub_nc_u32_e32 v7, v5, v7
	v_subrev_nc_u32_e32 v11, s24, v7
	v_cmp_le_u32_e32 vcc_lo, s24, v7
	s_wait_alu 0xfffd
	s_delay_alu instid0(VALU_DEP_2) | instskip(NEXT) | instid1(VALU_DEP_1)
	v_dual_cndmask_b32 v7, v7, v11 :: v_dual_cndmask_b32 v4, v4, v10
	v_cmp_le_u32_e32 vcc_lo, s24, v7
	s_delay_alu instid0(VALU_DEP_2) | instskip(SKIP_1) | instid1(VALU_DEP_1)
	v_add_nc_u32_e32 v10, 1, v4
	s_wait_alu 0xfffd
	v_cndmask_b32_e32 v12, v4, v10, vcc_lo
.LBB0_6:                                ;   in Loop: Header=BB0_2 Depth=1
	s_wait_alu 0xfffe
	s_or_b32 exec_lo, exec_lo, s2
	v_mul_lo_u32 v4, v13, s24
	s_delay_alu instid0(VALU_DEP_2)
	v_mul_lo_u32 v7, v12, s25
	s_load_b64 s[26:27], s[18:19], 0x0
	v_mad_co_u64_u32 v[10:11], null, v12, s24, 0
	s_load_b64 s[24:25], s[16:17], 0x0
	s_add_nc_u64 s[20:21], s[20:21], 1
	s_add_nc_u64 s[16:17], s[16:17], 8
	s_wait_alu 0xfffe
	v_cmp_ge_u64_e64 s2, s[20:21], s[10:11]
	s_add_nc_u64 s[18:19], s[18:19], 8
	s_add_nc_u64 s[22:23], s[22:23], 8
	v_add3_u32 v4, v11, v7, v4
	v_sub_co_u32 v5, vcc_lo, v5, v10
	s_wait_alu 0xfffd
	s_delay_alu instid0(VALU_DEP_2) | instskip(SKIP_2) | instid1(VALU_DEP_1)
	v_sub_co_ci_u32_e32 v4, vcc_lo, v6, v4, vcc_lo
	s_and_b32 vcc_lo, exec_lo, s2
	s_wait_kmcnt 0x0
	v_mul_lo_u32 v6, s26, v4
	v_mul_lo_u32 v7, s27, v5
	v_mad_co_u64_u32 v[1:2], null, s26, v5, v[1:2]
	v_mul_lo_u32 v4, s24, v4
	v_mul_lo_u32 v10, s25, v5
	v_mad_co_u64_u32 v[8:9], null, s24, v5, v[8:9]
	s_delay_alu instid0(VALU_DEP_4) | instskip(NEXT) | instid1(VALU_DEP_2)
	v_add3_u32 v2, v7, v2, v6
	v_add3_u32 v9, v10, v9, v4
	s_wait_alu 0xfffe
	s_cbranch_vccnz .LBB0_9
; %bb.7:                                ;   in Loop: Header=BB0_2 Depth=1
	v_dual_mov_b32 v5, v12 :: v_dual_mov_b32 v6, v13
	s_branch .LBB0_2
.LBB0_8:
	v_dual_mov_b32 v9, v2 :: v_dual_mov_b32 v8, v1
	v_dual_mov_b32 v13, v6 :: v_dual_mov_b32 v12, v5
.LBB0_9:
	s_load_b64 s[0:1], s[0:1], 0x28
	v_mul_hi_u32 v3, 0x1745d18, v0
	s_lshl_b64 s[10:11], s[10:11], 3
                                        ; implicit-def: $vgpr10
	s_wait_alu 0xfffe
	s_add_nc_u64 s[2:3], s[14:15], s[10:11]
	s_wait_kmcnt 0x0
	v_cmp_gt_u64_e32 vcc_lo, s[0:1], v[12:13]
	v_cmp_le_u64_e64 s0, s[0:1], v[12:13]
	s_delay_alu instid0(VALU_DEP_1)
	s_and_saveexec_b32 s1, s0
	s_wait_alu 0xfffe
	s_xor_b32 s0, exec_lo, s1
; %bb.10:
	v_mul_u32_u24_e32 v1, 0xb0, v3
                                        ; implicit-def: $vgpr3
	s_delay_alu instid0(VALU_DEP_1)
	v_sub_nc_u32_e32 v10, v0, v1
                                        ; implicit-def: $vgpr0
                                        ; implicit-def: $vgpr1_vgpr2
; %bb.11:
	s_wait_alu 0xfffe
	s_or_saveexec_b32 s1, s0
	s_load_b64 s[2:3], s[2:3], 0x0
	s_xor_b32 exec_lo, exec_lo, s1
	s_cbranch_execz .LBB0_15
; %bb.12:
	s_add_nc_u64 s[10:11], s[12:13], s[10:11]
	v_lshlrev_b64_e32 v[1:2], 2, v[1:2]
	s_load_b64 s[10:11], s[10:11], 0x0
	s_wait_kmcnt 0x0
	v_mul_lo_u32 v6, s11, v12
	v_mul_lo_u32 v7, s10, v13
	v_mad_co_u64_u32 v[4:5], null, s10, v12, 0
	s_delay_alu instid0(VALU_DEP_1) | instskip(SKIP_1) | instid1(VALU_DEP_2)
	v_add3_u32 v5, v5, v7, v6
	v_mul_u32_u24_e32 v6, 0xb0, v3
	v_lshlrev_b64_e32 v[3:4], 2, v[4:5]
	s_delay_alu instid0(VALU_DEP_2) | instskip(NEXT) | instid1(VALU_DEP_2)
	v_sub_nc_u32_e32 v10, v0, v6
	v_add_co_u32 v0, s0, s4, v3
	s_wait_alu 0xf1ff
	s_delay_alu instid0(VALU_DEP_3) | instskip(NEXT) | instid1(VALU_DEP_3)
	v_add_co_ci_u32_e64 v3, s0, s5, v4, s0
	v_lshlrev_b32_e32 v4, 2, v10
	s_delay_alu instid0(VALU_DEP_3) | instskip(SKIP_1) | instid1(VALU_DEP_3)
	v_add_co_u32 v0, s0, v0, v1
	s_wait_alu 0xf1ff
	v_add_co_ci_u32_e64 v1, s0, v3, v2, s0
	s_mov_b32 s4, exec_lo
	s_delay_alu instid0(VALU_DEP_2) | instskip(SKIP_1) | instid1(VALU_DEP_2)
	v_add_co_u32 v2, s0, v0, v4
	s_wait_alu 0xf1ff
	v_add_co_ci_u32_e64 v3, s0, 0, v1, s0
	s_clause 0x9
	global_load_b32 v5, v[2:3], off
	global_load_b32 v6, v[2:3], off offset:704
	global_load_b32 v7, v[2:3], off offset:1408
	;; [unrolled: 1-line block ×9, first 2 shown]
	v_add_nc_u32_e32 v3, 0, v4
	s_delay_alu instid0(VALU_DEP_1)
	v_add_nc_u32_e32 v4, 0x500, v3
	v_add_nc_u32_e32 v19, 0xa00, v3
	;; [unrolled: 1-line block ×4, first 2 shown]
	s_wait_loadcnt 0x8
	ds_store_2addr_b32 v3, v5, v6 offset1:176
	s_wait_loadcnt 0x6
	ds_store_2addr_b32 v4, v7, v11 offset0:32 offset1:208
	s_wait_loadcnt 0x4
	ds_store_2addr_b32 v19, v14, v15 offset0:64 offset1:240
	;; [unrolled: 2-line block ×3, first 2 shown]
	s_wait_loadcnt 0x0
	ds_store_2addr_b32 v21, v18, v2 offset1:176
	v_cmpx_eq_u32_e32 0xaf, v10
	s_cbranch_execz .LBB0_14
; %bb.13:
	global_load_b32 v0, v[0:1], off offset:7040
	v_dual_mov_b32 v1, 0 :: v_dual_mov_b32 v10, 0xaf
	s_wait_loadcnt 0x0
	ds_store_b32 v1, v0 offset:7040
.LBB0_14:
	s_wait_alu 0xfffe
	s_or_b32 exec_lo, exec_lo, s4
.LBB0_15:
	s_delay_alu instid0(SALU_CYCLE_1)
	s_or_b32 exec_lo, exec_lo, s1
	v_lshlrev_b32_e32 v14, 2, v10
	global_wb scope:SCOPE_SE
	s_wait_dscnt 0x0
	s_wait_kmcnt 0x0
	s_barrier_signal -1
	s_barrier_wait -1
	global_inv scope:SCOPE_SE
	v_add_nc_u32_e32 v27, 0, v14
	v_sub_nc_u32_e32 v2, 0, v14
	s_mov_b32 s1, exec_lo
                                        ; implicit-def: $vgpr0_vgpr1
	ds_load_u16 v5, v27
	ds_load_u16 v6, v2 offset:7040
	s_wait_dscnt 0x0
	v_add_f16_e32 v4, v6, v5
	v_sub_f16_e32 v3, v5, v6
	v_cmpx_ne_u32_e32 0, v10
	s_wait_alu 0xfffe
	s_xor_b32 s1, exec_lo, s1
	s_cbranch_execz .LBB0_17
; %bb.16:
	v_mov_b32_e32 v11, 0
	v_add_f16_e32 v4, v6, v5
	v_sub_f16_e32 v5, v5, v6
	s_delay_alu instid0(VALU_DEP_3) | instskip(NEXT) | instid1(VALU_DEP_1)
	v_lshlrev_b64_e32 v[0:1], 2, v[10:11]
	v_add_co_u32 v0, s0, s8, v0
	s_wait_alu 0xf1ff
	s_delay_alu instid0(VALU_DEP_2)
	v_add_co_ci_u32_e64 v1, s0, s9, v1, s0
	global_load_b32 v0, v[0:1], off offset:7032
	ds_load_u16 v1, v2 offset:7042
	ds_load_u16 v3, v27 offset:2
	s_wait_dscnt 0x0
	v_add_f16_e32 v6, v1, v3
	v_sub_f16_e32 v1, v3, v1
	s_wait_loadcnt 0x0
	v_lshrrev_b32_e32 v7, 16, v0
	s_delay_alu instid0(VALU_DEP_1) | instskip(NEXT) | instid1(VALU_DEP_3)
	v_fma_f16 v15, -v5, v7, v4
	v_fma_f16 v16, v6, v7, -v1
	v_fma_f16 v3, v6, v7, v1
	v_fma_f16 v4, v5, v7, v4
	s_delay_alu instid0(VALU_DEP_4) | instskip(NEXT) | instid1(VALU_DEP_4)
	v_fmac_f16_e32 v15, v0, v6
	v_fmac_f16_e32 v16, v5, v0
	s_delay_alu instid0(VALU_DEP_4) | instskip(NEXT) | instid1(VALU_DEP_4)
	v_fmac_f16_e32 v3, v5, v0
	v_fma_f16 v4, -v0, v6, v4
	v_dual_mov_b32 v0, v10 :: v_dual_mov_b32 v1, v11
	s_delay_alu instid0(VALU_DEP_4)
	v_pack_b32_f16 v5, v15, v16
	ds_store_b32 v2, v5 offset:7040
.LBB0_17:
	s_wait_alu 0xfffe
	s_and_not1_saveexec_b32 s0, s1
	s_cbranch_execz .LBB0_19
; %bb.18:
	v_mov_b32_e32 v5, 0
	ds_load_b32 v0, v5 offset:3520
	s_wait_dscnt 0x0
	v_pk_mul_f16 v6, 0xc0004000, v0
	v_mov_b32_e32 v0, 0
	v_mov_b32_e32 v1, 0
	ds_store_b32 v5, v6 offset:3520
.LBB0_19:
	s_wait_alu 0xfffe
	s_or_b32 exec_lo, exec_lo, s0
	v_lshlrev_b64_e32 v[0:1], 2, v[0:1]
	s_add_nc_u64 s[0:1], s[8:9], 0x1b78
	v_add_nc_u32_e32 v19, 0x500, v27
	v_add_nc_u32_e32 v20, 0x1600, v27
	v_and_b32_e32 v25, 1, v10
	v_add_nc_u32_e32 v21, 0x160, v10
	s_wait_alu 0xfffe
	v_add_co_u32 v0, s0, s0, v0
	s_wait_alu 0xf1ff
	v_add_co_ci_u32_e64 v1, s0, s1, v1, s0
	v_add_nc_u32_e32 v22, 0x210, v10
	v_add_nc_u32_e32 v23, 0x2c0, v10
	;; [unrolled: 1-line block ×3, first 2 shown]
	s_clause 0x3
	global_load_b32 v5, v[0:1], off offset:704
	global_load_b32 v6, v[0:1], off offset:1408
	;; [unrolled: 1-line block ×4, first 2 shown]
	v_perm_b32 v1, v3, v4, 0x5040100
	v_lshlrev_b32_e32 v31, 2, v25
	v_lshl_add_u32 v28, v21, 3, 0
	v_lshl_add_u32 v29, v22, 3, 0
	;; [unrolled: 1-line block ×3, first 2 shown]
	ds_store_b32 v27, v1
	ds_load_b32 v1, v27 offset:704
	ds_load_b32 v3, v2 offset:6336
	v_lshlrev_b32_e32 v21, 1, v21
	v_lshlrev_b32_e32 v22, 1, v22
	;; [unrolled: 1-line block ×3, first 2 shown]
	v_cmp_gt_u32_e64 s0, 0xa0, v10
	s_wait_dscnt 0x1
	v_lshrrev_b32_e32 v4, 16, v1
	s_wait_dscnt 0x0
	v_lshrrev_b32_e32 v11, 16, v3
	v_add_f16_e32 v15, v1, v3
	v_sub_f16_e32 v1, v1, v3
	s_delay_alu instid0(VALU_DEP_3) | instskip(SKIP_3) | instid1(VALU_DEP_1)
	v_add_f16_e32 v3, v11, v4
	v_sub_f16_e32 v4, v4, v11
	s_wait_loadcnt 0x3
	v_lshrrev_b32_e32 v16, 16, v5
	v_fma_f16 v11, v1, v16, v15
	s_delay_alu instid0(VALU_DEP_3) | instskip(SKIP_2) | instid1(VALU_DEP_4)
	v_fma_f16 v17, v3, v16, v4
	v_fma_f16 v15, -v1, v16, v15
	v_fma_f16 v4, v3, v16, -v4
	v_fma_f16 v11, -v5, v3, v11
	s_delay_alu instid0(VALU_DEP_4) | instskip(NEXT) | instid1(VALU_DEP_4)
	v_fmac_f16_e32 v17, v1, v5
	v_fmac_f16_e32 v15, v5, v3
	s_delay_alu instid0(VALU_DEP_4) | instskip(NEXT) | instid1(VALU_DEP_3)
	v_fmac_f16_e32 v4, v1, v5
	v_pack_b32_f16 v1, v11, v17
	s_wait_loadcnt 0x2
	v_lshrrev_b32_e32 v11, 16, v6
	s_delay_alu instid0(VALU_DEP_3)
	v_pack_b32_f16 v3, v15, v4
	ds_store_b32 v27, v1 offset:704
	ds_store_b32 v2, v3 offset:6336
	ds_load_b32 v1, v27 offset:1408
	ds_load_b32 v3, v2 offset:5632
	s_wait_dscnt 0x1
	v_lshrrev_b32_e32 v4, 16, v1
	s_wait_dscnt 0x0
	v_lshrrev_b32_e32 v5, 16, v3
	v_add_f16_e32 v15, v1, v3
	v_sub_f16_e32 v1, v1, v3
	s_delay_alu instid0(VALU_DEP_3) | instskip(SKIP_1) | instid1(VALU_DEP_3)
	v_add_f16_e32 v3, v5, v4
	v_sub_f16_e32 v4, v4, v5
	v_fma_f16 v5, v1, v11, v15
	v_fma_f16 v15, -v1, v11, v15
	s_delay_alu instid0(VALU_DEP_3) | instskip(SKIP_1) | instid1(VALU_DEP_4)
	v_fma_f16 v16, v3, v11, v4
	v_fma_f16 v4, v3, v11, -v4
	v_fma_f16 v5, -v6, v3, v5
	s_delay_alu instid0(VALU_DEP_4) | instskip(NEXT) | instid1(VALU_DEP_4)
	v_fmac_f16_e32 v15, v6, v3
	v_fmac_f16_e32 v16, v1, v6
	s_delay_alu instid0(VALU_DEP_4) | instskip(SKIP_2) | instid1(VALU_DEP_3)
	v_fmac_f16_e32 v4, v1, v6
	s_wait_loadcnt 0x1
	v_lshrrev_b32_e32 v6, 16, v7
	v_pack_b32_f16 v1, v5, v16
	s_delay_alu instid0(VALU_DEP_3)
	v_pack_b32_f16 v3, v15, v4
	ds_store_b32 v27, v1 offset:1408
	ds_store_b32 v2, v3 offset:5632
	ds_load_b32 v1, v27 offset:2112
	ds_load_b32 v3, v2 offset:4928
	s_wait_dscnt 0x1
	v_lshrrev_b32_e32 v4, 16, v1
	s_wait_dscnt 0x0
	v_lshrrev_b32_e32 v5, 16, v3
	v_add_f16_e32 v11, v1, v3
	v_sub_f16_e32 v1, v1, v3
	s_delay_alu instid0(VALU_DEP_3) | instskip(SKIP_1) | instid1(VALU_DEP_3)
	v_add_f16_e32 v3, v5, v4
	v_sub_f16_e32 v4, v4, v5
	v_fma_f16 v5, v1, v6, v11
	v_fma_f16 v11, -v1, v6, v11
	s_delay_alu instid0(VALU_DEP_3) | instskip(SKIP_1) | instid1(VALU_DEP_4)
	v_fma_f16 v15, v3, v6, v4
	v_fma_f16 v4, v3, v6, -v4
	v_fma_f16 v5, -v7, v3, v5
	s_delay_alu instid0(VALU_DEP_4) | instskip(SKIP_4) | instid1(VALU_DEP_2)
	v_fmac_f16_e32 v11, v7, v3
	s_wait_loadcnt 0x0
	v_lshrrev_b32_e32 v6, 16, v0
	v_fmac_f16_e32 v15, v1, v7
	v_fmac_f16_e32 v4, v1, v7
	v_pack_b32_f16 v1, v5, v15
	s_delay_alu instid0(VALU_DEP_2)
	v_pack_b32_f16 v3, v11, v4
	ds_store_b32 v27, v1 offset:2112
	ds_store_b32 v2, v3 offset:4928
	ds_load_b32 v1, v27 offset:2816
	ds_load_b32 v3, v2 offset:4224
	s_wait_dscnt 0x1
	v_lshrrev_b32_e32 v4, 16, v1
	s_wait_dscnt 0x0
	v_lshrrev_b32_e32 v5, 16, v3
	v_add_f16_e32 v7, v1, v3
	v_sub_f16_e32 v1, v1, v3
	s_delay_alu instid0(VALU_DEP_3) | instskip(SKIP_1) | instid1(VALU_DEP_3)
	v_add_f16_e32 v3, v5, v4
	v_sub_f16_e32 v4, v4, v5
	v_fma_f16 v5, v1, v6, v7
	v_fma_f16 v7, -v1, v6, v7
	s_delay_alu instid0(VALU_DEP_3) | instskip(SKIP_1) | instid1(VALU_DEP_4)
	v_fma_f16 v11, v3, v6, v4
	v_fma_f16 v4, v3, v6, -v4
	v_fma_f16 v5, -v0, v3, v5
	s_delay_alu instid0(VALU_DEP_4) | instskip(NEXT) | instid1(VALU_DEP_4)
	v_fmac_f16_e32 v7, v0, v3
	v_fmac_f16_e32 v11, v1, v0
	s_delay_alu instid0(VALU_DEP_4) | instskip(SKIP_1) | instid1(VALU_DEP_3)
	v_fmac_f16_e32 v4, v1, v0
	v_add_nc_u32_e32 v0, 0xa00, v27
	v_pack_b32_f16 v1, v5, v11
	s_delay_alu instid0(VALU_DEP_3)
	v_pack_b32_f16 v3, v7, v4
	v_add_nc_u32_e32 v7, 0x1000, v27
	ds_store_b32 v27, v1 offset:2816
	ds_store_b32 v2, v3 offset:4224
	global_wb scope:SCOPE_SE
	s_wait_dscnt 0x0
	s_barrier_signal -1
	s_barrier_wait -1
	global_inv scope:SCOPE_SE
	global_wb scope:SCOPE_SE
	s_barrier_signal -1
	s_barrier_wait -1
	global_inv scope:SCOPE_SE
	ds_load_2addr_b32 v[1:2], v27 offset1:176
	ds_load_2addr_b32 v[3:4], v0 offset0:64 offset1:240
	ds_load_2addr_b32 v[5:6], v7 offset0:32 offset1:208
	;; [unrolled: 1-line block ×3, first 2 shown]
	ds_load_2addr_b32 v[17:18], v20 offset1:176
	v_add_nc_u32_e32 v11, 0xb0, v10
	global_wb scope:SCOPE_SE
	s_wait_dscnt 0x0
	s_barrier_signal -1
	s_barrier_wait -1
	global_inv scope:SCOPE_SE
	v_lshl_add_u32 v26, v11, 3, 0
	v_pk_add_f16 v4, v1, v4 neg_lo:[0,1] neg_hi:[0,1]
	v_pk_add_f16 v5, v2, v5 neg_lo:[0,1] neg_hi:[0,1]
	;; [unrolled: 1-line block ×5, first 2 shown]
	v_pk_fma_f16 v1, v1, 2.0, v4 op_sel_hi:[1,0,1] neg_lo:[0,0,1] neg_hi:[0,0,1]
	v_pk_fma_f16 v2, v2, 2.0, v5 op_sel_hi:[1,0,1] neg_lo:[0,0,1] neg_hi:[0,0,1]
	;; [unrolled: 1-line block ×5, first 2 shown]
	ds_store_2addr_b32 v24, v1, v4 offset1:1
	ds_store_2addr_b32 v26, v2, v5 offset1:1
	;; [unrolled: 1-line block ×5, first 2 shown]
	global_wb scope:SCOPE_SE
	s_wait_dscnt 0x0
	s_barrier_signal -1
	s_barrier_wait -1
	global_inv scope:SCOPE_SE
	global_load_b32 v24, v31, s[8:9]
	ds_load_2addr_b32 v[5:6], v0 offset0:64 offset1:240
	ds_load_2addr_b32 v[3:4], v7 offset0:32 offset1:208
	ds_load_2addr_b32 v[1:2], v20 offset1:176
	v_lshlrev_b32_e32 v26, 1, v10
	v_lshlrev_b32_e32 v29, 1, v11
	v_and_or_b32 v17, 0x7fc, v21, v25
	v_and_or_b32 v18, 0x7fc, v22, v25
	v_and_b32_e32 v28, 3, v10
	v_and_or_b32 v15, 0x1fc, v26, v25
	v_and_or_b32 v16, 0x3fc, v29, v25
	v_lshl_add_u32 v33, v17, 2, 0
	v_lshl_add_u32 v34, v18, 2, 0
	v_and_or_b32 v25, 0x7fc, v23, v25
	v_lshl_add_u32 v31, v15, 2, 0
	v_lshl_add_u32 v32, v16, 2, 0
	ds_load_2addr_b32 v[15:16], v27 offset1:176
	ds_load_2addr_b32 v[17:18], v19 offset0:32 offset1:208
	v_lshlrev_b32_e32 v30, 2, v28
	v_lshl_add_u32 v25, v25, 2, 0
	global_wb scope:SCOPE_SE
	s_wait_loadcnt_dscnt 0x0
	s_barrier_signal -1
	s_barrier_wait -1
	global_inv scope:SCOPE_SE
	v_pk_mul_f16 v39, v24, v6 op_sel:[0,1]
	v_pk_mul_f16 v38, v24, v3 op_sel:[0,1]
	;; [unrolled: 1-line block ×5, first 2 shown]
	v_pk_fma_f16 v44, v24, v6, v39 op_sel:[0,0,1] op_sel_hi:[1,1,0] neg_lo:[0,0,1] neg_hi:[0,0,1]
	v_pk_fma_f16 v6, v24, v6, v39 op_sel:[0,0,1] op_sel_hi:[1,0,0]
	v_pk_fma_f16 v43, v24, v3, v38 op_sel:[0,0,1] op_sel_hi:[1,1,0] neg_lo:[0,0,1] neg_hi:[0,0,1]
	v_pk_fma_f16 v3, v24, v3, v38 op_sel:[0,0,1] op_sel_hi:[1,0,0]
	v_pk_fma_f16 v42, v24, v4, v37 op_sel:[0,0,1] op_sel_hi:[1,1,0] neg_lo:[0,0,1] neg_hi:[0,0,1]
	v_pk_fma_f16 v4, v24, v4, v37 op_sel:[0,0,1] op_sel_hi:[1,0,0]
	v_pk_fma_f16 v41, v24, v1, v36 op_sel:[0,0,1] op_sel_hi:[1,1,0] neg_lo:[0,0,1] neg_hi:[0,0,1]
	v_pk_fma_f16 v1, v24, v1, v36 op_sel:[0,0,1] op_sel_hi:[1,0,0]
	v_pk_fma_f16 v40, v24, v2, v35 op_sel:[0,0,1] op_sel_hi:[1,1,0] neg_lo:[0,0,1] neg_hi:[0,0,1]
	v_pk_fma_f16 v2, v24, v2, v35 op_sel:[0,0,1] op_sel_hi:[1,0,0]
	v_bfi_b32 v6, 0xffff, v44, v6
	v_bfi_b32 v3, 0xffff, v43, v3
	;; [unrolled: 1-line block ×5, first 2 shown]
	v_pk_add_f16 v6, v15, v6 neg_lo:[0,1] neg_hi:[0,1]
	v_pk_add_f16 v3, v16, v3 neg_lo:[0,1] neg_hi:[0,1]
	;; [unrolled: 1-line block ×5, first 2 shown]
	v_pk_fma_f16 v15, v15, 2.0, v6 op_sel_hi:[1,0,1] neg_lo:[0,0,1] neg_hi:[0,0,1]
	v_pk_fma_f16 v16, v16, 2.0, v3 op_sel_hi:[1,0,1] neg_lo:[0,0,1] neg_hi:[0,0,1]
	v_pk_fma_f16 v17, v17, 2.0, v4 op_sel_hi:[1,0,1] neg_lo:[0,0,1] neg_hi:[0,0,1]
	v_pk_fma_f16 v18, v18, 2.0, v1 op_sel_hi:[1,0,1] neg_lo:[0,0,1] neg_hi:[0,0,1]
	v_pk_fma_f16 v5, v5, 2.0, v2 op_sel_hi:[1,0,1] neg_lo:[0,0,1] neg_hi:[0,0,1]
	ds_store_2addr_b32 v31, v15, v6 offset1:2
	ds_store_2addr_b32 v32, v16, v3 offset1:2
	;; [unrolled: 1-line block ×5, first 2 shown]
	global_wb scope:SCOPE_SE
	s_wait_dscnt 0x0
	s_barrier_signal -1
	s_barrier_wait -1
	global_inv scope:SCOPE_SE
	global_load_b32 v24, v30, s[8:9] offset:8
	ds_load_2addr_b32 v[5:6], v0 offset0:64 offset1:240
	ds_load_2addr_b32 v[3:4], v7 offset0:32 offset1:208
	ds_load_2addr_b32 v[1:2], v20 offset1:176
	v_and_or_b32 v15, 0x1f8, v26, v28
	v_and_or_b32 v16, 0x3f8, v29, v28
	;; [unrolled: 1-line block ×4, first 2 shown]
	v_and_b32_e32 v25, 7, v10
	v_lshl_add_u32 v31, v15, 2, 0
	v_lshl_add_u32 v32, v16, 2, 0
	;; [unrolled: 1-line block ×4, first 2 shown]
	ds_load_2addr_b32 v[15:16], v27 offset1:176
	ds_load_2addr_b32 v[17:18], v19 offset0:32 offset1:208
	v_and_or_b32 v28, 0x7f8, v23, v28
	v_lshlrev_b32_e32 v30, 2, v25
	global_wb scope:SCOPE_SE
	s_wait_loadcnt_dscnt 0x0
	s_barrier_signal -1
	s_barrier_wait -1
	v_lshl_add_u32 v28, v28, 2, 0
	global_inv scope:SCOPE_SE
	v_pk_mul_f16 v39, v24, v6 op_sel:[0,1]
	v_pk_mul_f16 v38, v24, v3 op_sel:[0,1]
	;; [unrolled: 1-line block ×5, first 2 shown]
	v_pk_fma_f16 v44, v24, v6, v39 op_sel:[0,0,1] op_sel_hi:[1,1,0] neg_lo:[0,0,1] neg_hi:[0,0,1]
	v_pk_fma_f16 v6, v24, v6, v39 op_sel:[0,0,1] op_sel_hi:[1,0,0]
	v_pk_fma_f16 v43, v24, v3, v38 op_sel:[0,0,1] op_sel_hi:[1,1,0] neg_lo:[0,0,1] neg_hi:[0,0,1]
	v_pk_fma_f16 v3, v24, v3, v38 op_sel:[0,0,1] op_sel_hi:[1,0,0]
	;; [unrolled: 2-line block ×5, first 2 shown]
	v_bfi_b32 v6, 0xffff, v44, v6
	v_bfi_b32 v3, 0xffff, v43, v3
	;; [unrolled: 1-line block ×5, first 2 shown]
	v_pk_add_f16 v6, v15, v6 neg_lo:[0,1] neg_hi:[0,1]
	v_pk_add_f16 v3, v16, v3 neg_lo:[0,1] neg_hi:[0,1]
	;; [unrolled: 1-line block ×5, first 2 shown]
	v_pk_fma_f16 v15, v15, 2.0, v6 op_sel_hi:[1,0,1] neg_lo:[0,0,1] neg_hi:[0,0,1]
	v_pk_fma_f16 v16, v16, 2.0, v3 op_sel_hi:[1,0,1] neg_lo:[0,0,1] neg_hi:[0,0,1]
	;; [unrolled: 1-line block ×5, first 2 shown]
	ds_store_2addr_b32 v31, v15, v6 offset1:4
	ds_store_2addr_b32 v32, v16, v3 offset1:4
	;; [unrolled: 1-line block ×5, first 2 shown]
	global_wb scope:SCOPE_SE
	s_wait_dscnt 0x0
	s_barrier_signal -1
	s_barrier_wait -1
	global_inv scope:SCOPE_SE
	global_load_b32 v24, v30, s[8:9] offset:24
	ds_load_2addr_b32 v[5:6], v0 offset0:64 offset1:240
	ds_load_2addr_b32 v[3:4], v7 offset0:32 offset1:208
	ds_load_2addr_b32 v[1:2], v20 offset1:176
	v_and_or_b32 v15, 0x1f0, v26, v25
	v_and_or_b32 v16, 0x3f0, v29, v25
	;; [unrolled: 1-line block ×4, first 2 shown]
	v_and_b32_e32 v28, 15, v10
	v_lshl_add_u32 v31, v15, 2, 0
	v_lshl_add_u32 v32, v16, 2, 0
	;; [unrolled: 1-line block ×4, first 2 shown]
	ds_load_2addr_b32 v[15:16], v27 offset1:176
	ds_load_2addr_b32 v[17:18], v19 offset0:32 offset1:208
	v_and_or_b32 v25, 0x7f0, v23, v25
	v_lshlrev_b32_e32 v30, 2, v28
	global_wb scope:SCOPE_SE
	s_wait_loadcnt_dscnt 0x0
	s_barrier_signal -1
	s_barrier_wait -1
	v_lshl_add_u32 v25, v25, 2, 0
	global_inv scope:SCOPE_SE
	v_pk_mul_f16 v39, v24, v6 op_sel:[0,1]
	v_pk_mul_f16 v38, v24, v3 op_sel:[0,1]
	;; [unrolled: 1-line block ×5, first 2 shown]
	v_pk_fma_f16 v44, v24, v6, v39 op_sel:[0,0,1] op_sel_hi:[1,1,0] neg_lo:[0,0,1] neg_hi:[0,0,1]
	v_pk_fma_f16 v6, v24, v6, v39 op_sel:[0,0,1] op_sel_hi:[1,0,0]
	v_pk_fma_f16 v43, v24, v3, v38 op_sel:[0,0,1] op_sel_hi:[1,1,0] neg_lo:[0,0,1] neg_hi:[0,0,1]
	v_pk_fma_f16 v3, v24, v3, v38 op_sel:[0,0,1] op_sel_hi:[1,0,0]
	;; [unrolled: 2-line block ×5, first 2 shown]
	v_bfi_b32 v6, 0xffff, v44, v6
	v_bfi_b32 v3, 0xffff, v43, v3
	;; [unrolled: 1-line block ×5, first 2 shown]
	v_pk_add_f16 v6, v15, v6 neg_lo:[0,1] neg_hi:[0,1]
	v_pk_add_f16 v3, v16, v3 neg_lo:[0,1] neg_hi:[0,1]
	;; [unrolled: 1-line block ×5, first 2 shown]
	v_pk_fma_f16 v15, v15, 2.0, v6 op_sel_hi:[1,0,1] neg_lo:[0,0,1] neg_hi:[0,0,1]
	v_pk_fma_f16 v16, v16, 2.0, v3 op_sel_hi:[1,0,1] neg_lo:[0,0,1] neg_hi:[0,0,1]
	;; [unrolled: 1-line block ×5, first 2 shown]
	ds_store_2addr_b32 v31, v15, v6 offset1:8
	ds_store_2addr_b32 v32, v16, v3 offset1:8
	;; [unrolled: 1-line block ×5, first 2 shown]
	global_wb scope:SCOPE_SE
	s_wait_dscnt 0x0
	s_barrier_signal -1
	s_barrier_wait -1
	global_inv scope:SCOPE_SE
	global_load_b32 v15, v30, s[8:9] offset:56
	ds_load_2addr_b32 v[1:2], v20 offset1:176
	ds_load_2addr_b32 v[3:4], v7 offset0:32 offset1:208
	ds_load_2addr_b32 v[5:6], v0 offset0:64 offset1:240
	v_and_or_b32 v7, 0x1e0, v26, v28
	v_and_or_b32 v16, 0x3e0, v29, v28
	;; [unrolled: 1-line block ×5, first 2 shown]
	ds_load_2addr_b32 v[25:26], v27 offset1:176
	ds_load_2addr_b32 v[28:29], v19 offset0:32 offset1:208
	v_lshl_add_u32 v32, v16, 2, 0
	v_lshl_add_u32 v34, v17, 2, 0
	;; [unrolled: 1-line block ×5, first 2 shown]
	global_wb scope:SCOPE_SE
	s_wait_loadcnt_dscnt 0x0
	s_barrier_signal -1
	s_barrier_wait -1
	global_inv scope:SCOPE_SE
                                        ; implicit-def: $vgpr39
	v_pk_mul_f16 v16, v15, v2 op_sel:[0,1]
	v_pk_mul_f16 v17, v15, v1 op_sel:[0,1]
	;; [unrolled: 1-line block ×5, first 2 shown]
	v_pk_fma_f16 v21, v15, v2, v16 op_sel:[0,0,1] op_sel_hi:[1,1,0] neg_lo:[0,0,1] neg_hi:[0,0,1]
	v_pk_fma_f16 v2, v15, v2, v16 op_sel:[0,0,1] op_sel_hi:[1,0,0]
	v_pk_fma_f16 v16, v15, v1, v17 op_sel:[0,0,1] op_sel_hi:[1,1,0] neg_lo:[0,0,1] neg_hi:[0,0,1]
	v_pk_fma_f16 v1, v15, v1, v17 op_sel:[0,0,1] op_sel_hi:[1,0,0]
	v_pk_fma_f16 v17, v15, v4, v18 op_sel:[0,0,1] op_sel_hi:[1,1,0] neg_lo:[0,0,1] neg_hi:[0,0,1]
	v_pk_fma_f16 v4, v15, v4, v18 op_sel:[0,0,1] op_sel_hi:[1,0,0]
	v_pk_fma_f16 v18, v15, v3, v19 op_sel:[0,0,1] op_sel_hi:[1,1,0] neg_lo:[0,0,1] neg_hi:[0,0,1]
	v_pk_fma_f16 v3, v15, v3, v19 op_sel:[0,0,1] op_sel_hi:[1,0,0]
	v_pk_fma_f16 v19, v15, v6, v20 op_sel:[0,0,1] op_sel_hi:[1,1,0] neg_lo:[0,0,1] neg_hi:[0,0,1]
	v_pk_fma_f16 v6, v15, v6, v20 op_sel:[0,0,1] op_sel_hi:[1,0,0]
	v_bfi_b32 v2, 0xffff, v21, v2
	v_bfi_b32 v1, 0xffff, v16, v1
	;; [unrolled: 1-line block ×5, first 2 shown]
	v_pk_add_f16 v22, v5, v2 neg_lo:[0,1] neg_hi:[0,1]
	v_pk_add_f16 v20, v29, v1 neg_lo:[0,1] neg_hi:[0,1]
	;; [unrolled: 1-line block ×5, first 2 shown]
	v_pk_fma_f16 v21, v5, 2.0, v22 op_sel_hi:[1,0,1] neg_lo:[0,0,1] neg_hi:[0,0,1]
	v_pk_fma_f16 v19, v29, 2.0, v20 op_sel_hi:[1,0,1] neg_lo:[0,0,1] neg_hi:[0,0,1]
	;; [unrolled: 1-line block ×5, first 2 shown]
	v_lshrrev_b32_e32 v30, 16, v22
	v_lshrrev_b32_e32 v31, 16, v20
	;; [unrolled: 1-line block ×4, first 2 shown]
	ds_store_2addr_b32 v7, v15, v16 offset1:16
	ds_store_2addr_b32 v32, v23, v24 offset1:16
	;; [unrolled: 1-line block ×5, first 2 shown]
	v_lshrrev_b32_e32 v36, 16, v21
	v_lshrrev_b32_e32 v35, 16, v19
	;; [unrolled: 1-line block ×6, first 2 shown]
	global_wb scope:SCOPE_SE
	s_wait_dscnt 0x0
	s_barrier_signal -1
	s_barrier_wait -1
	global_inv scope:SCOPE_SE
                                        ; implicit-def: $vgpr34
	s_and_saveexec_b32 s1, s0
	s_cbranch_execz .LBB0_21
; %bb.20:
	v_add_nc_u32_e32 v1, 0x1400, v27
	v_add_nc_u32_e32 v2, 0x400, v27
	ds_load_2addr_b32 v[17:18], v0 offset1:160
	v_add_nc_u32_e32 v0, 0xe00, v27
	ds_load_2addr_b32 v[15:16], v27 offset1:160
	ds_load_b32 v34, v27 offset:6400
	ds_load_2addr_b32 v[21:22], v1 offset1:160
	ds_load_2addr_b32 v[23:24], v2 offset0:64 offset1:224
	ds_load_2addr_b32 v[19:20], v0 offset0:64 offset1:224
	s_wait_dscnt 0x5
	v_lshrrev_b32_e32 v32, 16, v17
	v_lshrrev_b32_e32 v29, 16, v18
	s_wait_dscnt 0x4
	v_lshrrev_b32_e32 v28, 16, v15
	s_wait_dscnt 0x3
	v_lshrrev_b32_e32 v39, 16, v34
	v_lshrrev_b32_e32 v37, 16, v16
	s_wait_dscnt 0x2
	v_lshrrev_b32_e32 v36, 16, v21
	;; [unrolled: 3-line block ×4, first 2 shown]
	v_lshrrev_b32_e32 v31, 16, v20
.LBB0_21:
	s_wait_alu 0xfffe
	s_or_b32 exec_lo, exec_lo, s1
	global_wb scope:SCOPE_SE
	s_barrier_signal -1
	s_barrier_wait -1
	global_inv scope:SCOPE_SE
	s_and_saveexec_b32 s1, s0
	s_cbranch_execz .LBB0_23
; %bb.22:
	v_and_b32_e32 v40, 31, v10
	v_lshrrev_b32_e32 v41, 5, v10
	s_delay_alu instid0(VALU_DEP_2) | instskip(NEXT) | instid1(VALU_DEP_2)
	v_mul_u32_u24_e32 v0, 10, v40
	v_mul_u32_u24_e32 v41, 0x160, v41
	s_delay_alu instid0(VALU_DEP_2) | instskip(NEXT) | instid1(VALU_DEP_2)
	v_lshlrev_b32_e32 v25, 2, v0
	v_or_b32_e32 v40, v41, v40
	s_clause 0x2
	global_load_b128 v[0:3], v25, s[8:9] offset:120
	global_load_b128 v[4:7], v25, s[8:9] offset:136
	global_load_b64 v[25:26], v25, s[8:9] offset:152
	v_lshl_add_u32 v40, v40, 2, 0
	s_delay_alu instid0(VALU_DEP_1)
	v_add_nc_u32_e32 v41, 0x400, v40
	s_wait_loadcnt 0x2
	v_lshrrev_b32_e32 v42, 16, v0
	v_lshrrev_b32_e32 v43, 16, v1
	s_wait_loadcnt 0x0
	v_lshrrev_b32_e32 v47, 16, v26
	v_lshrrev_b32_e32 v46, 16, v4
	;; [unrolled: 1-line block ×3, first 2 shown]
	v_mul_f16_e32 v53, v16, v42
	v_mul_f16_e32 v42, v37, v42
	v_mul_f16_e32 v52, v34, v47
	v_mul_f16_e32 v47, v39, v47
	v_lshrrev_b32_e32 v44, 16, v2
	v_lshrrev_b32_e32 v45, 16, v3
	;; [unrolled: 1-line block ×5, first 2 shown]
	v_mul_f16_e32 v54, v22, v51
	v_mul_f16_e32 v55, v23, v43
	;; [unrolled: 1-line block ×6, first 2 shown]
	v_fmac_f16_e32 v53, v37, v0
	v_fma_f16 v0, v16, v0, -v42
	v_fma_f16 v16, v34, v26, -v47
	v_mul_f16_e32 v56, v21, v50
	v_mul_f16_e32 v57, v24, v44
	;; [unrolled: 1-line block ×7, first 2 shown]
	v_fmac_f16_e32 v54, v30, v25
	v_fmac_f16_e32 v55, v38, v1
	v_fma_f16 v1, v23, v1, -v43
	v_fma_f16 v22, v22, v25, -v51
	v_fmac_f16_e32 v61, v29, v4
	v_fma_f16 v4, v18, v4, -v46
	v_sub_f16_e32 v18, v0, v16
	v_add_f16_e32 v30, v0, v16
	v_add_f16_e32 v0, v15, v0
	;; [unrolled: 1-line block ×3, first 2 shown]
	v_mul_f16_e32 v50, v36, v50
	v_mul_f16_e32 v45, v32, v45
	;; [unrolled: 1-line block ×3, first 2 shown]
	v_fmac_f16_e32 v52, v39, v26
	v_fmac_f16_e32 v56, v36, v7
	;; [unrolled: 1-line block ×3, first 2 shown]
	v_fma_f16 v2, v24, v2, -v44
	v_fmac_f16_e32 v58, v31, v6
	v_fmac_f16_e32 v59, v32, v3
	v_fma_f16 v6, v20, v6, -v49
	v_fmac_f16_e32 v60, v35, v5
	v_sub_f16_e32 v20, v1, v22
	v_add_f16_e32 v32, v1, v22
	v_add_f16_e32 v0, v0, v1
	;; [unrolled: 1-line block ×3, first 2 shown]
	v_fma_f16 v7, v21, v7, -v50
	v_fma_f16 v3, v17, v3, -v45
	;; [unrolled: 1-line block ×3, first 2 shown]
	v_add_f16_e32 v17, v53, v52
	v_sub_f16_e32 v31, v53, v52
	v_add_f16_e32 v19, v55, v54
	v_add_f16_e32 v21, v57, v56
	;; [unrolled: 1-line block ×6, first 2 shown]
	v_sub_f16_e32 v23, v2, v7
	v_sub_f16_e32 v25, v3, v6
	;; [unrolled: 1-line block ×7, first 2 shown]
	v_mul_f16_e32 v43, 0x36a6, v17
	v_mul_f16_e32 v48, 0xbb47, v31
	;; [unrolled: 1-line block ×26, first 2 shown]
	v_add_f16_e32 v0, v0, v3
	v_add_f16_e32 v1, v1, v59
	;; [unrolled: 1-line block ×5, first 2 shown]
	v_mul_f16_e32 v49, 0xba0c, v33
	v_mul_f16_e32 v65, 0x3482, v33
	;; [unrolled: 1-line block ×24, first 2 shown]
	v_fmamk_f16 v95, v18, 0x3b47, v43
	v_fmamk_f16 v100, v30, 0x36a6, v48
	;; [unrolled: 1-line block ×7, first 2 shown]
	v_fma_f16 v78, v30, 0xbbad, -v78
	v_fma_f16 v71, v30, 0xb93d, -v71
	;; [unrolled: 1-line block ×5, first 2 shown]
	v_fmac_f16_e32 v31, 0x3abb, v30
	v_fmamk_f16 v117, v18, 0x3482, v73
	v_fmac_f16_e32 v73, 0xb482, v18
	v_fmac_f16_e32 v66, 0xba0c, v18
	;; [unrolled: 1-line block ×4, first 2 shown]
	v_fmamk_f16 v96, v20, 0x3a0c, v44
	v_fmamk_f16 v97, v23, 0xb482, v45
	;; [unrolled: 1-line block ×13, first 2 shown]
	v_fmac_f16_e32 v74, 0x3853, v20
	v_fmac_f16_e32 v67, 0x3beb, v20
	v_fmac_f16_e32 v51, 0x3482, v20
	v_fmac_f16_e32 v44, 0xba0c, v20
	v_fmamk_f16 v20, v23, 0x3a0c, v75
	v_fmac_f16_e32 v75, 0xba0c, v23
	v_fmac_f16_e32 v68, 0xb853, v23
	v_fmac_f16_e32 v53, 0x3b47, v23
	v_fmac_f16_e32 v45, 0x3482, v23
	v_fmamk_f16 v23, v25, 0xbb47, v76
	;; [unrolled: 5-line block ×4, first 2 shown]
	v_add_f16_e32 v0, v0, v4
	v_add_f16_e32 v1, v1, v61
	v_fmamk_f16 v101, v32, 0xb93d, v49
	v_fmamk_f16 v108, v32, 0xbbad, v65
	;; [unrolled: 1-line block ×3, first 2 shown]
	v_fma_f16 v17, v17, 0x3abb, -v80
	v_fmamk_f16 v80, v19, 0x36a6, v81
	v_fma_f16 v19, v19, 0x36a6, -v81
	v_fmamk_f16 v81, v21, 0xb08e, v82
	;; [unrolled: 2-line block ×5, first 2 shown]
	v_fma_f16 v79, v32, 0x3abb, -v79
	v_fma_f16 v72, v32, 0xb08e, -v72
	;; [unrolled: 1-line block ×5, first 2 shown]
	v_fmac_f16_e32 v33, 0x36a6, v32
	v_fmamk_f16 v2, v36, 0xb93d, v34
	v_fma_f16 v32, v36, 0xb93d, -v34
	v_fmamk_f16 v34, v36, 0x3abb, v85
	v_fma_f16 v57, v36, 0x3abb, -v85
	v_fmamk_f16 v85, v36, 0x36a6, v86
	v_fma_f16 v86, v36, 0x36a6, -v86
	v_fmamk_f16 v119, v36, 0xbbad, v55
	v_fma_f16 v55, v36, 0xbbad, -v55
	v_fma_f16 v120, v36, 0xb08e, -v35
	v_fmac_f16_e32 v35, 0xb08e, v36
	v_fmamk_f16 v36, v38, 0x36a6, v90
	v_fma_f16 v90, v38, 0x36a6, -v90
	v_fmamk_f16 v121, v38, 0xbbad, v89
	v_fma_f16 v89, v38, 0xbbad, -v89
	v_fmamk_f16 v122, v38, 0x3abb, v88
	v_fma_f16 v88, v38, 0x3abb, -v88
	v_fmamk_f16 v123, v38, 0xb08e, v87
	v_fma_f16 v87, v38, 0xb08e, -v87
	v_fma_f16 v124, v38, 0xb93d, -v37
	;; [unrolled: 10-line block ×3, first 2 shown]
	v_fmac_f16_e32 v39, 0xbbad, v42
	v_add_f16_e32 v42, v15, v100
	v_add_f16_e32 v100, v15, v107
	v_add_f16_e32 v107, v15, v113
	v_add_f16_e32 v113, v15, v114
	v_add_f16_e32 v78, v15, v78
	v_add_f16_e32 v71, v15, v71
	v_add_f16_e32 v64, v15, v64
	v_add_f16_e32 v48, v15, v48
	v_add_f16_e32 v114, v15, v115
	v_add_f16_e32 v15, v15, v31
	v_add_f16_e32 v3, v28, v95
	v_add_f16_e32 v31, v28, v102
	v_add_f16_e32 v59, v28, v109
	v_add_f16_e32 v95, v28, v117
	v_add_f16_e32 v73, v28, v73
	v_add_f16_e32 v66, v28, v66
	v_add_f16_e32 v50, v28, v50
	v_add_f16_e32 v43, v28, v43
	v_add_f16_e32 v29, v28, v29
	v_add_f16_e32 v0, v0, v5
	v_add_f16_e32 v1, v1, v60
	v_add_f16_e32 v17, v28, v17
	v_add_f16_e32 v3, v96, v3
	v_add_f16_e32 v28, v101, v42
	v_add_f16_e32 v31, v103, v31
	v_add_f16_e32 v42, v108, v100
	v_add_f16_e32 v59, v110, v59
	v_add_f16_e32 v96, v116, v107
	v_add_f16_e32 v18, v18, v95
	v_add_f16_e32 v84, v84, v113
	v_add_f16_e32 v73, v74, v73
	v_add_f16_e32 v74, v79, v78
	v_add_f16_e32 v66, v67, v66
	v_add_f16_e32 v67, v72, v71
	v_add_f16_e32 v50, v51, v50
	v_add_f16_e32 v51, v65, v64
	v_add_f16_e32 v43, v44, v43
	v_add_f16_e32 v44, v49, v48
	v_add_f16_e32 v29, v80, v29
	v_add_f16_e32 v48, v118, v114
	v_add_f16_e32 v0, v0, v6
	v_add_f16_e32 v1, v1, v58
	v_add_f16_e32 v4, v19, v17
	v_add_f16_e32 v15, v33, v15
	v_add_f16_e32 v17, v119, v28
	v_add_f16_e32 v19, v104, v31
	v_add_f16_e32 v28, v85, v42
	v_add_f16_e32 v31, v111, v59
	v_add_f16_e32 v33, v34, v96
	v_add_f16_e32 v18, v20, v18
	v_add_f16_e32 v2, v2, v84
	v_add_f16_e32 v32, v32, v74
	v_add_f16_e32 v34, v68, v66
	v_add_f16_e32 v42, v57, v67
	v_add_f16_e32 v49, v53, v50
	v_add_f16_e32 v50, v86, v51
	v_add_f16_e32 v43, v45, v43
	v_add_f16_e32 v44, v55, v44
	v_add_f16_e32 v20, v75, v73
	v_add_f16_e32 v3, v97, v3
	v_add_f16_e32 v29, v81, v29
	v_add_f16_e32 v45, v120, v48
	v_add_f16_e32 v0, v0, v7
	v_add_f16_e32 v1, v1, v56
	v_add_f16_e32 v4, v21, v4
	v_add_f16_e32 v5, v35, v15
	v_add_f16_e32 v15, v123, v17
	v_add_f16_e32 v17, v105, v19
	v_add_f16_e32 v19, v122, v28
	v_add_f16_e32 v21, v112, v31
	v_add_f16_e32 v28, v121, v33
	v_add_f16_e32 v18, v23, v18
	v_add_f16_e32 v2, v36, v2
	v_add_f16_e32 v23, v90, v32
	v_add_f16_e32 v31, v69, v34
	v_add_f16_e32 v32, v89, v42
	v_add_f16_e32 v33, v62, v49
	v_add_f16_e32 v34, v88, v50
	v_add_f16_e32 v35, v46, v43
	v_add_f16_e32 v36, v87, v44
	v_add_f16_e32 v20, v76, v20
	v_add_f16_e32 v3, v98, v3
	v_add_f16_e32 v29, v82, v29
	v_add_f16_e32 v42, v124, v45
	v_add_f16_e32 v0, v0, v22
	v_add_f16_e32 v1, v1, v54
	v_add_f16_e32 v4, v24, v4
	v_add_f16_e32 v5, v37, v5
	v_add_f16_e32 v6, v127, v15
	v_add_f16_e32 v15, v106, v17
	v_add_f16_e32 v17, v126, v19
	v_add_f16_e32 v19, v30, v21
	v_add_f16_e32 v21, v125, v28
	v_add_f16_e32 v18, v25, v18
	v_add_f16_e32 v24, v70, v31
	v_add_f16_e32 v25, v93, v32
	v_add_f16_e32 v28, v63, v33
	v_add_f16_e32 v30, v92, v34
	v_add_f16_e32 v31, v47, v35
	v_add_f16_e32 v32, v91, v36
	v_add_f16_e32 v20, v77, v20
	v_add_f16_e32 v23, v94, v23
	v_add_f16_e32 v2, v38, v2
	v_add_f16_e32 v3, v99, v3
	v_add_f16_e32 v29, v83, v29
	v_add_f16_e64 v7, v128, v42
	v_add_f16_e32 v0, v0, v16
	v_add_f16_e32 v1, v1, v52
	;; [unrolled: 1-line block ×4, first 2 shown]
	v_pack_b32_f16 v22, v32, v31
	v_pack_b32_f16 v26, v30, v28
	;; [unrolled: 1-line block ×11, first 2 shown]
	ds_store_2addr_b32 v40, v22, v26 offset0:64 offset1:96
	ds_store_2addr_b32 v40, v24, v20 offset0:128 offset1:160
	;; [unrolled: 1-line block ×3, first 2 shown]
	ds_store_2addr_b32 v41, v15, v3 offset1:32
	ds_store_2addr_b32 v40, v0, v7 offset1:32
	ds_store_b32 v40, v4 offset:1280
.LBB0_23:
	s_wait_alu 0xfffe
	s_or_b32 exec_lo, exec_lo, s1
	v_mov_b32_e32 v15, 0
	global_wb scope:SCOPE_SE
	s_wait_dscnt 0x0
	s_barrier_signal -1
	s_barrier_wait -1
	global_inv scope:SCOPE_SE
	v_lshlrev_b64_e32 v[0:1], 2, v[14:15]
	v_lshlrev_b32_e32 v14, 2, v11
	v_add_nc_u32_e32 v11, 0xa00, v27
	v_add_nc_u32_e32 v26, 0x1600, v27
	;; [unrolled: 1-line block ×3, first 2 shown]
	ds_load_2addr_b32 v[16:17], v27 offset1:176
	v_lshlrev_b64_e32 v[4:5], 2, v[14:15]
	v_add_co_u32 v0, s0, s8, v0
	s_wait_alu 0xf1ff
	v_add_co_ci_u32_e64 v1, s0, s9, v1, s0
	v_add_nc_u32_e32 v14, 0x1000, v27
	s_delay_alu instid0(VALU_DEP_4)
	v_add_co_u32 v4, s0, s8, v4
	global_load_b128 v[0:3], v[0:1], off offset:1400
	s_wait_alu 0xf1ff
	v_add_co_ci_u32_e64 v5, s0, s9, v5, s0
	global_load_b128 v[4:7], v[4:5], off offset:1400
	ds_load_2addr_b32 v[18:19], v11 offset0:64 offset1:240
	ds_load_2addr_b32 v[20:21], v14 offset0:32 offset1:208
	ds_load_2addr_b32 v[22:23], v26 offset1:176
	ds_load_2addr_b32 v[24:25], v28 offset0:32 offset1:208
	global_wb scope:SCOPE_SE
	s_wait_loadcnt_dscnt 0x0
	s_barrier_signal -1
	s_barrier_wait -1
	v_lshrrev_b32_e32 v29, 16, v16
	v_lshrrev_b32_e32 v30, 16, v17
	global_inv scope:SCOPE_SE
	v_lshrrev_b32_e32 v35, 16, v18
	v_lshrrev_b32_e32 v36, 16, v20
	;; [unrolled: 1-line block ×12, first 2 shown]
	s_delay_alu instid0(VALU_DEP_4)
	v_mul_f16_e32 v43, v38, v34
	v_mul_f16_e32 v38, v38, v24
	;; [unrolled: 1-line block ×8, first 2 shown]
	v_lshrrev_b32_e32 v47, 16, v4
	v_lshrrev_b32_e32 v48, 16, v5
	;; [unrolled: 1-line block ×4, first 2 shown]
	v_fma_f16 v24, v0, v24, -v43
	v_fmac_f16_e32 v38, v0, v34
	v_fma_f16 v0, v1, v18, -v44
	v_fmac_f16_e32 v40, v1, v35
	;; [unrolled: 2-line block ×4, first 2 shown]
	v_mul_f16_e32 v3, v47, v39
	v_mul_f16_e32 v18, v47, v25
	;; [unrolled: 1-line block ×8, first 2 shown]
	v_fma_f16 v3, v4, v25, -v3
	v_fmac_f16_e32 v18, v4, v39
	v_fma_f16 v4, v19, v5, -v20
	v_fmac_f16_e32 v22, v31, v5
	;; [unrolled: 2-line block ×4, first 2 shown]
	v_add_f16_e32 v7, v16, v24
	v_add_f16_e32 v19, v0, v1
	v_sub_f16_e32 v23, v24, v0
	v_sub_f16_e32 v25, v2, v1
	v_add_f16_e32 v31, v24, v2
	v_sub_f16_e32 v32, v0, v24
	v_sub_f16_e32 v33, v1, v2
	v_add_f16_e32 v34, v29, v38
	v_add_f16_e32 v36, v40, v41
	v_sub_f16_e32 v43, v38, v40
	v_sub_f16_e32 v44, v42, v41
	v_add_f16_e32 v45, v38, v42
	v_sub_f16_e32 v20, v38, v42
	v_sub_f16_e32 v39, v0, v1
	;; [unrolled: 1-line block ×4, first 2 shown]
	v_add_f16_e32 v0, v7, v0
	v_fma_f16 v7, -0.5, v19, v16
	v_add_f16_e32 v19, v23, v25
	v_fma_f16 v16, -0.5, v31, v16
	v_add_f16_e32 v23, v32, v33
	v_add_f16_e32 v25, v34, v40
	v_fma_f16 v31, -0.5, v36, v29
	v_add_f16_e32 v32, v43, v44
	v_add_f16_e32 v34, v17, v3
	;; [unrolled: 1-line block ×3, first 2 shown]
	v_sub_f16_e32 v43, v3, v4
	v_sub_f16_e32 v44, v6, v5
	v_add_f16_e32 v48, v30, v18
	v_add_f16_e32 v49, v22, v35
	v_sub_f16_e32 v21, v40, v41
	v_fmac_f16_e32 v29, -0.5, v45
	v_add_f16_e32 v45, v3, v6
	v_add_f16_e32 v53, v18, v37
	v_sub_f16_e32 v24, v24, v2
	v_add_f16_e32 v33, v38, v46
	v_sub_f16_e32 v38, v18, v37
	v_sub_f16_e32 v40, v22, v35
	;; [unrolled: 1-line block ×7, first 2 shown]
	v_add_f16_e32 v0, v0, v1
	v_fmamk_f16 v1, v20, 0x3b9c, v7
	v_fmac_f16_e32 v7, 0xbb9c, v20
	v_add_f16_e32 v4, v34, v4
	v_fma_f16 v34, -0.5, v36, v17
	v_add_f16_e32 v36, v43, v44
	v_add_f16_e32 v22, v48, v22
	v_fma_f16 v44, -0.5, v49, v30
	v_fmamk_f16 v55, v21, 0xbb9c, v16
	v_fmac_f16_e32 v16, 0x3b9c, v21
	v_fmamk_f16 v56, v39, 0x3b9c, v29
	v_fmac_f16_e32 v29, 0xbb9c, v39
	v_fmac_f16_e32 v17, -0.5, v45
	v_fmac_f16_e32 v30, -0.5, v53
	v_sub_f16_e32 v47, v5, v6
	v_sub_f16_e32 v52, v37, v35
	v_add_f16_e32 v25, v25, v41
	v_fmamk_f16 v41, v24, 0xbb9c, v31
	v_fmac_f16_e32 v1, 0x38b4, v21
	v_fmac_f16_e32 v7, 0xb8b4, v21
	v_add_f16_e32 v4, v4, v5
	v_fmamk_f16 v5, v38, 0x3b9c, v34
	v_add_f16_e32 v21, v22, v35
	v_fmamk_f16 v22, v3, 0xbb9c, v44
	v_sub_f16_e32 v54, v35, v37
	v_fmac_f16_e32 v31, 0x3b9c, v24
	v_fmac_f16_e32 v55, 0x38b4, v20
	;; [unrolled: 1-line block ×5, first 2 shown]
	v_fmamk_f16 v20, v40, 0xbb9c, v17
	v_fmamk_f16 v24, v50, 0x3b9c, v30
	v_fmac_f16_e32 v17, 0x3b9c, v40
	v_fmac_f16_e32 v30, 0xbb9c, v50
	;; [unrolled: 1-line block ×4, first 2 shown]
	v_add_f16_e32 v45, v51, v52
	v_fmac_f16_e32 v41, 0xb8b4, v39
	v_fmac_f16_e32 v5, 0x38b4, v40
	;; [unrolled: 1-line block ×3, first 2 shown]
	v_add_f16_e32 v43, v46, v47
	v_add_f16_e32 v18, v18, v54
	v_fmac_f16_e32 v20, 0x38b4, v38
	v_fmac_f16_e32 v24, 0xb8b4, v3
	;; [unrolled: 1-line block ×7, first 2 shown]
	v_add_f16_e32 v0, v0, v2
	v_add_f16_e32 v2, v25, v42
	;; [unrolled: 1-line block ×4, first 2 shown]
	v_fmac_f16_e32 v1, 0x34f2, v19
	v_fmac_f16_e32 v41, 0x34f2, v32
	;; [unrolled: 1-line block ×16, first 2 shown]
	v_pack_b32_f16 v0, v0, v2
	v_pack_b32_f16 v4, v4, v6
	;; [unrolled: 1-line block ×10, first 2 shown]
	ds_store_2addr_b32 v27, v0, v4 offset1:176
	ds_store_2addr_b32 v28, v1, v5 offset0:32 offset1:208
	ds_store_2addr_b32 v11, v2, v6 offset0:64 offset1:240
	;; [unrolled: 1-line block ×3, first 2 shown]
	ds_store_2addr_b32 v26, v7, v17 offset1:176
	global_wb scope:SCOPE_SE
	s_wait_dscnt 0x0
	s_barrier_signal -1
	s_barrier_wait -1
	global_inv scope:SCOPE_SE
	s_and_saveexec_b32 s0, vcc_lo
	s_cbranch_execz .LBB0_25
; %bb.24:
	v_mul_lo_u32 v2, s3, v12
	v_mul_lo_u32 v3, s2, v13
	v_mad_co_u64_u32 v[0:1], null, s2, v12, 0
	v_dual_mov_b32 v11, v15 :: v_dual_add_nc_u32 v14, 0xb0, v10
	v_lshl_add_u32 v13, v10, 2, 0
	s_delay_alu instid0(VALU_DEP_2) | instskip(NEXT) | instid1(VALU_DEP_4)
	v_lshlrev_b64_e32 v[6:7], 2, v[10:11]
	v_add3_u32 v1, v1, v3, v2
	v_lshlrev_b64_e32 v[2:3], 2, v[8:9]
	v_lshlrev_b64_e32 v[8:9], 2, v[14:15]
	v_add_nc_u32_e32 v14, 0x160, v10
	v_add_nc_u32_e32 v11, 0x500, v13
	v_lshlrev_b64_e32 v[0:1], 2, v[0:1]
	v_add_nc_u32_e32 v18, 0xa00, v13
	ds_load_2addr_b32 v[4:5], v13 offset1:176
	v_add_nc_u32_e32 v24, 0x1000, v13
	v_add_nc_u32_e32 v13, 0x1600, v13
	v_add_co_u32 v12, vcc_lo, s6, v0
	s_wait_alu 0xfffd
	v_add_co_ci_u32_e32 v16, vcc_lo, s7, v1, vcc_lo
	v_lshlrev_b64_e32 v[0:1], 2, v[14:15]
	s_delay_alu instid0(VALU_DEP_3) | instskip(SKIP_1) | instid1(VALU_DEP_3)
	v_add_co_u32 v32, vcc_lo, v12, v2
	s_wait_alu 0xfffd
	v_add_co_ci_u32_e32 v33, vcc_lo, v16, v3, vcc_lo
	v_add_nc_u32_e32 v14, 0x210, v10
	s_delay_alu instid0(VALU_DEP_3) | instskip(SKIP_1) | instid1(VALU_DEP_3)
	v_add_co_u32 v2, vcc_lo, v32, v6
	s_wait_alu 0xfffd
	v_add_co_ci_u32_e32 v3, vcc_lo, v33, v7, vcc_lo
	v_add_co_u32 v6, vcc_lo, v32, v8
	s_wait_alu 0xfffd
	v_add_co_ci_u32_e32 v7, vcc_lo, v33, v9, vcc_lo
	ds_load_2addr_b32 v[8:9], v11 offset0:32 offset1:208
	v_lshlrev_b64_e32 v[11:12], 2, v[14:15]
	v_add_nc_u32_e32 v14, 0x2c0, v10
	v_add_co_u32 v0, vcc_lo, v32, v0
	s_wait_alu 0xfffd
	v_add_co_ci_u32_e32 v1, vcc_lo, v33, v1, vcc_lo
	s_delay_alu instid0(VALU_DEP_3) | instskip(SKIP_4) | instid1(VALU_DEP_3)
	v_lshlrev_b64_e32 v[16:17], 2, v[14:15]
	v_add_nc_u32_e32 v14, 0x370, v10
	v_add_co_u32 v11, vcc_lo, v32, v11
	s_wait_alu 0xfffd
	v_add_co_ci_u32_e32 v12, vcc_lo, v33, v12, vcc_lo
	v_lshlrev_b64_e32 v[20:21], 2, v[14:15]
	v_add_nc_u32_e32 v14, 0x420, v10
	v_add_co_u32 v16, vcc_lo, v32, v16
	ds_load_2addr_b32 v[18:19], v18 offset0:64 offset1:240
	s_wait_alu 0xfffd
	v_add_co_ci_u32_e32 v17, vcc_lo, v33, v17, vcc_lo
	v_lshlrev_b64_e32 v[22:23], 2, v[14:15]
	v_add_nc_u32_e32 v14, 0x4d0, v10
	v_add_co_u32 v20, vcc_lo, v32, v20
	ds_load_2addr_b32 v[24:25], v24 offset0:32 offset1:208
	s_wait_alu 0xfffd
	v_add_co_ci_u32_e32 v21, vcc_lo, v33, v21, vcc_lo
	v_lshlrev_b64_e32 v[26:27], 2, v[14:15]
	v_add_nc_u32_e32 v14, 0x580, v10
	ds_load_2addr_b32 v[28:29], v13 offset1:176
	v_add_co_u32 v22, vcc_lo, v32, v22
	s_wait_alu 0xfffd
	v_add_co_ci_u32_e32 v23, vcc_lo, v33, v23, vcc_lo
	v_lshlrev_b64_e32 v[30:31], 2, v[14:15]
	v_add_nc_u32_e32 v14, 0x630, v10
	v_add_co_u32 v26, vcc_lo, v32, v26
	s_wait_alu 0xfffd
	v_add_co_ci_u32_e32 v27, vcc_lo, v33, v27, vcc_lo
	s_delay_alu instid0(VALU_DEP_3) | instskip(SKIP_3) | instid1(VALU_DEP_3)
	v_lshlrev_b64_e32 v[13:14], 2, v[14:15]
	v_add_co_u32 v30, vcc_lo, v32, v30
	s_wait_alu 0xfffd
	v_add_co_ci_u32_e32 v31, vcc_lo, v33, v31, vcc_lo
	v_add_co_u32 v13, vcc_lo, v32, v13
	s_wait_alu 0xfffd
	v_add_co_ci_u32_e32 v14, vcc_lo, v33, v14, vcc_lo
	s_wait_dscnt 0x4
	s_clause 0x1
	global_store_b32 v[2:3], v4, off
	global_store_b32 v[6:7], v5, off
	s_wait_dscnt 0x3
	s_clause 0x1
	global_store_b32 v[0:1], v8, off
	global_store_b32 v[11:12], v9, off
	;; [unrolled: 4-line block ×5, first 2 shown]
.LBB0_25:
	s_nop 0
	s_sendmsg sendmsg(MSG_DEALLOC_VGPRS)
	s_endpgm
	.section	.rodata,"a",@progbits
	.p2align	6, 0x0
	.amdhsa_kernel fft_rtc_fwd_len1760_factors_2_2_2_2_2_11_5_wgs_176_tpt_176_halfLds_half_op_CI_CI_unitstride_sbrr_C2R_dirReg
		.amdhsa_group_segment_fixed_size 0
		.amdhsa_private_segment_fixed_size 0
		.amdhsa_kernarg_size 104
		.amdhsa_user_sgpr_count 2
		.amdhsa_user_sgpr_dispatch_ptr 0
		.amdhsa_user_sgpr_queue_ptr 0
		.amdhsa_user_sgpr_kernarg_segment_ptr 1
		.amdhsa_user_sgpr_dispatch_id 0
		.amdhsa_user_sgpr_private_segment_size 0
		.amdhsa_wavefront_size32 1
		.amdhsa_uses_dynamic_stack 0
		.amdhsa_enable_private_segment 0
		.amdhsa_system_sgpr_workgroup_id_x 1
		.amdhsa_system_sgpr_workgroup_id_y 0
		.amdhsa_system_sgpr_workgroup_id_z 0
		.amdhsa_system_sgpr_workgroup_info 0
		.amdhsa_system_vgpr_workitem_id 0
		.amdhsa_next_free_vgpr 129
		.amdhsa_next_free_sgpr 39
		.amdhsa_reserve_vcc 1
		.amdhsa_float_round_mode_32 0
		.amdhsa_float_round_mode_16_64 0
		.amdhsa_float_denorm_mode_32 3
		.amdhsa_float_denorm_mode_16_64 3
		.amdhsa_fp16_overflow 0
		.amdhsa_workgroup_processor_mode 1
		.amdhsa_memory_ordered 1
		.amdhsa_forward_progress 0
		.amdhsa_round_robin_scheduling 0
		.amdhsa_exception_fp_ieee_invalid_op 0
		.amdhsa_exception_fp_denorm_src 0
		.amdhsa_exception_fp_ieee_div_zero 0
		.amdhsa_exception_fp_ieee_overflow 0
		.amdhsa_exception_fp_ieee_underflow 0
		.amdhsa_exception_fp_ieee_inexact 0
		.amdhsa_exception_int_div_zero 0
	.end_amdhsa_kernel
	.text
.Lfunc_end0:
	.size	fft_rtc_fwd_len1760_factors_2_2_2_2_2_11_5_wgs_176_tpt_176_halfLds_half_op_CI_CI_unitstride_sbrr_C2R_dirReg, .Lfunc_end0-fft_rtc_fwd_len1760_factors_2_2_2_2_2_11_5_wgs_176_tpt_176_halfLds_half_op_CI_CI_unitstride_sbrr_C2R_dirReg
                                        ; -- End function
	.section	.AMDGPU.csdata,"",@progbits
; Kernel info:
; codeLenInByte = 9948
; NumSgprs: 41
; NumVgprs: 129
; ScratchSize: 0
; MemoryBound: 0
; FloatMode: 240
; IeeeMode: 1
; LDSByteSize: 0 bytes/workgroup (compile time only)
; SGPRBlocks: 5
; VGPRBlocks: 16
; NumSGPRsForWavesPerEU: 41
; NumVGPRsForWavesPerEU: 129
; Occupancy: 10
; WaveLimiterHint : 1
; COMPUTE_PGM_RSRC2:SCRATCH_EN: 0
; COMPUTE_PGM_RSRC2:USER_SGPR: 2
; COMPUTE_PGM_RSRC2:TRAP_HANDLER: 0
; COMPUTE_PGM_RSRC2:TGID_X_EN: 1
; COMPUTE_PGM_RSRC2:TGID_Y_EN: 0
; COMPUTE_PGM_RSRC2:TGID_Z_EN: 0
; COMPUTE_PGM_RSRC2:TIDIG_COMP_CNT: 0
	.text
	.p2alignl 7, 3214868480
	.fill 96, 4, 3214868480
	.type	__hip_cuid_7323f39266111f7d,@object ; @__hip_cuid_7323f39266111f7d
	.section	.bss,"aw",@nobits
	.globl	__hip_cuid_7323f39266111f7d
__hip_cuid_7323f39266111f7d:
	.byte	0                               ; 0x0
	.size	__hip_cuid_7323f39266111f7d, 1

	.ident	"AMD clang version 19.0.0git (https://github.com/RadeonOpenCompute/llvm-project roc-6.4.0 25133 c7fe45cf4b819c5991fe208aaa96edf142730f1d)"
	.section	".note.GNU-stack","",@progbits
	.addrsig
	.addrsig_sym __hip_cuid_7323f39266111f7d
	.amdgpu_metadata
---
amdhsa.kernels:
  - .args:
      - .actual_access:  read_only
        .address_space:  global
        .offset:         0
        .size:           8
        .value_kind:     global_buffer
      - .offset:         8
        .size:           8
        .value_kind:     by_value
      - .actual_access:  read_only
        .address_space:  global
        .offset:         16
        .size:           8
        .value_kind:     global_buffer
      - .actual_access:  read_only
        .address_space:  global
        .offset:         24
        .size:           8
        .value_kind:     global_buffer
      - .actual_access:  read_only
        .address_space:  global
        .offset:         32
        .size:           8
        .value_kind:     global_buffer
      - .offset:         40
        .size:           8
        .value_kind:     by_value
      - .actual_access:  read_only
        .address_space:  global
        .offset:         48
        .size:           8
        .value_kind:     global_buffer
      - .actual_access:  read_only
        .address_space:  global
        .offset:         56
        .size:           8
        .value_kind:     global_buffer
      - .offset:         64
        .size:           4
        .value_kind:     by_value
      - .actual_access:  read_only
        .address_space:  global
        .offset:         72
        .size:           8
        .value_kind:     global_buffer
      - .actual_access:  read_only
        .address_space:  global
        .offset:         80
        .size:           8
        .value_kind:     global_buffer
      - .actual_access:  read_only
        .address_space:  global
        .offset:         88
        .size:           8
        .value_kind:     global_buffer
      - .actual_access:  write_only
        .address_space:  global
        .offset:         96
        .size:           8
        .value_kind:     global_buffer
    .group_segment_fixed_size: 0
    .kernarg_segment_align: 8
    .kernarg_segment_size: 104
    .language:       OpenCL C
    .language_version:
      - 2
      - 0
    .max_flat_workgroup_size: 176
    .name:           fft_rtc_fwd_len1760_factors_2_2_2_2_2_11_5_wgs_176_tpt_176_halfLds_half_op_CI_CI_unitstride_sbrr_C2R_dirReg
    .private_segment_fixed_size: 0
    .sgpr_count:     41
    .sgpr_spill_count: 0
    .symbol:         fft_rtc_fwd_len1760_factors_2_2_2_2_2_11_5_wgs_176_tpt_176_halfLds_half_op_CI_CI_unitstride_sbrr_C2R_dirReg.kd
    .uniform_work_group_size: 1
    .uses_dynamic_stack: false
    .vgpr_count:     129
    .vgpr_spill_count: 0
    .wavefront_size: 32
    .workgroup_processor_mode: 1
amdhsa.target:   amdgcn-amd-amdhsa--gfx1201
amdhsa.version:
  - 1
  - 2
...

	.end_amdgpu_metadata
